;; amdgpu-corpus repo=ROCm/rocFFT kind=compiled arch=gfx950 opt=O3
	.text
	.amdgcn_target "amdgcn-amd-amdhsa--gfx950"
	.amdhsa_code_object_version 6
	.protected	bluestein_single_fwd_len490_dim1_dp_op_CI_CI ; -- Begin function bluestein_single_fwd_len490_dim1_dp_op_CI_CI
	.globl	bluestein_single_fwd_len490_dim1_dp_op_CI_CI
	.p2align	8
	.type	bluestein_single_fwd_len490_dim1_dp_op_CI_CI,@function
bluestein_single_fwd_len490_dim1_dp_op_CI_CI: ; @bluestein_single_fwd_len490_dim1_dp_op_CI_CI
; %bb.0:
	s_load_dwordx4 s[8:11], s[0:1], 0x28
	v_mul_u32_u24_e32 v1, 0x3a9, v0
	v_lshrrev_b32_e32 v2, 16, v1
	v_mad_u64_u32 v[88:89], s[2:3], s2, 3, v[2:3]
	v_mov_b32_e32 v89, 0
	s_waitcnt lgkmcnt(0)
	v_cmp_gt_u64_e32 vcc, s[8:9], v[88:89]
	s_and_saveexec_b64 s[2:3], vcc
	s_cbranch_execz .LBB0_15
; %bb.1:
	v_mul_lo_u16_e32 v1, 0x46, v2
	s_mov_b32 s2, 0xaaaaaaab
	v_sub_u16_e32 v89, v0, v1
	v_mul_hi_u32 v0, v88, s2
	s_load_dwordx2 s[8:9], s[0:1], 0x0
	s_load_dwordx2 s[12:13], s[0:1], 0x38
	v_lshrrev_b32_e32 v0, 1, v0
	v_lshl_add_u32 v0, v0, 1, v0
	v_sub_u32_e32 v0, v88, v0
	v_mul_u32_u24_e32 v114, 0x1ea, v0
	v_cmp_gt_u16_e64 s[2:3], 49, v89
	v_lshlrev_b32_e32 v90, 4, v89
	v_lshlrev_b32_e32 v112, 4, v114
	s_and_saveexec_b64 s[14:15], s[2:3]
	s_cbranch_execz .LBB0_3
; %bb.2:
	s_load_dwordx2 s[4:5], s[0:1], 0x18
	v_mov_b32_e32 v0, s10
	v_mov_b32_e32 v1, s11
	;; [unrolled: 1-line block ×4, first 2 shown]
	s_waitcnt lgkmcnt(0)
	s_load_dwordx4 s[4:7], s[4:5], 0x0
	v_lshl_add_u64 v[44:45], s[8:9], 0, v[90:91]
	v_lshl_add_u32 v84, v89, 4, v112
	v_add_u32_e32 v85, v112, v90
	s_waitcnt lgkmcnt(0)
	v_mad_u64_u32 v[2:3], s[10:11], s6, v88, 0
	v_mad_u64_u32 v[4:5], s[10:11], s4, v89, 0
	v_mov_b32_e32 v6, v3
	v_mov_b32_e32 v8, v5
	v_mad_u64_u32 v[6:7], s[6:7], s7, v88, v[6:7]
	v_mov_b32_e32 v3, v6
	v_mad_u64_u32 v[6:7], s[6:7], s5, v89, v[8:9]
	v_mov_b32_e32 v5, v6
	v_lshl_add_u64 v[0:1], v[2:3], 4, v[0:1]
	v_lshl_add_u64 v[12:13], v[4:5], 4, v[0:1]
	s_mulk_i32 s5, 0x310
	v_mad_u64_u32 v[32:33], s[6:7], s4, v80, v[12:13]
	global_load_dwordx4 v[0:3], v[12:13], off
	v_add_u32_e32 v33, s5, v33
	global_load_dwordx4 v[4:7], v90, s[8:9]
	global_load_dwordx4 v[8:11], v90, s[8:9] offset:784
	global_load_dwordx4 v[12:15], v90, s[8:9] offset:1568
	;; [unrolled: 1-line block ×5, first 2 shown]
	global_load_dwordx4 v[28:31], v[32:33], off
	v_mad_u64_u32 v[36:37], s[6:7], s4, v80, v[32:33]
	v_add_u32_e32 v37, s5, v37
	global_load_dwordx4 v[32:35], v[36:37], off
	v_mad_u64_u32 v[36:37], s[6:7], s4, v80, v[36:37]
	v_add_u32_e32 v37, s5, v37
	v_mad_u64_u32 v[46:47], s[6:7], s4, v80, v[36:37]
	global_load_dwordx4 v[36:39], v[36:37], off
	v_add_u32_e32 v47, s5, v47
	global_load_dwordx4 v[40:43], v[46:47], off
	s_movk_i32 s10, 0x1000
	v_mad_u64_u32 v[48:49], s[6:7], s4, v80, v[46:47]
	v_add_co_u32_e32 v76, vcc, s10, v44
	v_add_u32_e32 v49, s5, v49
	s_nop 0
	v_addc_co_u32_e32 v77, vcc, 0, v45, vcc
	global_load_dwordx4 v[44:47], v[48:49], off
	v_mad_u64_u32 v[60:61], s[6:7], s4, v80, v[48:49]
	v_add_u32_e32 v61, s5, v61
	v_mad_u64_u32 v[64:65], s[6:7], s4, v80, v[60:61]
	global_load_dwordx4 v[48:51], v[60:61], off
	global_load_dwordx4 v[52:55], v[76:77], off offset:608
	global_load_dwordx4 v[56:59], v[76:77], off offset:1392
	v_add_u32_e32 v65, s5, v65
	global_load_dwordx4 v[60:63], v[64:65], off
	v_mad_u64_u32 v[78:79], s[6:7], s4, v80, v[64:65]
	v_add_u32_e32 v79, s5, v79
	global_load_dwordx4 v[64:67], v[78:79], off
	global_load_dwordx4 v[68:71], v[76:77], off offset:2176
	global_load_dwordx4 v[72:75], v[76:77], off offset:2960
	v_mad_u64_u32 v[76:77], s[6:7], s4, v80, v[78:79]
	v_add_u32_e32 v77, s5, v77
	global_load_dwordx4 v[76:79], v[76:77], off
	s_waitcnt vmcnt(18)
	v_mul_f64 v[82:83], v[0:1], v[6:7]
	v_mul_f64 v[80:81], v[2:3], v[6:7]
	v_fma_f64 v[82:83], v[2:3], v[4:5], -v[82:83]
	v_fmac_f64_e32 v[80:81], v[0:1], v[4:5]
	s_waitcnt vmcnt(12)
	v_mul_f64 v[2:3], v[28:29], v[10:11]
	v_mul_f64 v[0:1], v[30:31], v[10:11]
	v_fma_f64 v[2:3], v[30:31], v[8:9], -v[2:3]
	v_fmac_f64_e32 v[0:1], v[28:29], v[8:9]
	ds_write_b128 v84, v[80:83]
	ds_write_b128 v85, v[0:3] offset:784
	s_waitcnt vmcnt(11)
	v_mul_f64 v[2:3], v[32:33], v[14:15]
	v_mul_f64 v[0:1], v[34:35], v[14:15]
	v_fma_f64 v[2:3], v[34:35], v[12:13], -v[2:3]
	v_fmac_f64_e32 v[0:1], v[32:33], v[12:13]
	ds_write_b128 v85, v[0:3] offset:1568
	s_waitcnt vmcnt(10)
	v_mul_f64 v[0:1], v[38:39], v[18:19]
	v_mul_f64 v[2:3], v[36:37], v[18:19]
	v_fmac_f64_e32 v[0:1], v[36:37], v[16:17]
	v_fma_f64 v[2:3], v[38:39], v[16:17], -v[2:3]
	ds_write_b128 v85, v[0:3] offset:2352
	s_waitcnt vmcnt(9)
	v_mul_f64 v[0:1], v[42:43], v[22:23]
	v_mul_f64 v[2:3], v[40:41], v[22:23]
	v_fmac_f64_e32 v[0:1], v[40:41], v[20:21]
	v_fma_f64 v[2:3], v[42:43], v[20:21], -v[2:3]
	;; [unrolled: 6-line block ×7, first 2 shown]
	ds_write_b128 v85, v[0:3] offset:7056
.LBB0_3:
	s_or_b64 exec, exec, s[14:15]
	s_load_dwordx2 s[4:5], s[0:1], 0x20
	s_load_dwordx2 s[10:11], s[0:1], 0x8
	s_waitcnt lgkmcnt(0)
	s_barrier
	s_waitcnt lgkmcnt(0)
                                        ; implicit-def: $vgpr4_vgpr5
                                        ; implicit-def: $vgpr8_vgpr9
                                        ; implicit-def: $vgpr16_vgpr17
                                        ; implicit-def: $vgpr20_vgpr21
                                        ; implicit-def: $vgpr28_vgpr29
                                        ; implicit-def: $vgpr32_vgpr33
                                        ; implicit-def: $vgpr36_vgpr37
                                        ; implicit-def: $vgpr40_vgpr41
                                        ; implicit-def: $vgpr44_vgpr45
                                        ; implicit-def: $vgpr48_vgpr49
	s_and_saveexec_b64 s[0:1], s[2:3]
	s_cbranch_execz .LBB0_5
; %bb.4:
	v_lshl_add_u32 v0, v114, 4, v90
	ds_read_b128 v[4:7], v0
	ds_read_b128 v[8:11], v0 offset:784
	ds_read_b128 v[16:19], v0 offset:1568
	;; [unrolled: 1-line block ×9, first 2 shown]
.LBB0_5:
	s_or_b64 exec, exec, s[0:1]
	s_waitcnt lgkmcnt(5)
	v_add_f64 v[0:1], v[16:17], -v[28:29]
	s_waitcnt lgkmcnt(1)
	v_add_f64 v[2:3], v[44:45], -v[36:37]
	s_mov_b32 s6, 0x134454ff
	v_add_f64 v[64:65], v[0:1], v[2:3]
	v_add_f64 v[0:1], v[16:17], v[44:45]
	s_mov_b32 s7, 0x3fee6f0e
	v_add_f64 v[62:63], v[30:31], -v[38:39]
	s_mov_b32 s0, 0x4755a5e
	s_mov_b32 s17, 0xbfee6f0e
	;; [unrolled: 1-line block ×3, first 2 shown]
	v_fma_f64 v[54:55], -0.5, v[0:1], v[4:5]
	v_add_f64 v[58:59], v[18:19], -v[46:47]
	s_mov_b32 s1, 0x3fe2cf23
	s_mov_b32 s14, 0x372fe950
	;; [unrolled: 1-line block ×4, first 2 shown]
	v_fma_f64 v[52:53], s[16:17], v[62:63], v[54:55]
	v_add_f64 v[0:1], v[28:29], -v[16:17]
	v_add_f64 v[2:3], v[36:37], -v[44:45]
	v_fmac_f64_e32 v[54:55], s[6:7], v[62:63]
	s_mov_b32 s15, 0x3fd3c6ef
	v_fmac_f64_e32 v[52:53], s[0:1], v[58:59]
	v_add_f64 v[0:1], v[0:1], v[2:3]
	v_fmac_f64_e32 v[54:55], s[18:19], v[58:59]
	v_fmac_f64_e32 v[52:53], s[14:15], v[0:1]
	;; [unrolled: 1-line block ×3, first 2 shown]
	v_add_f64 v[0:1], v[18:19], -v[30:31]
	v_add_f64 v[2:3], v[46:47], -v[38:39]
	v_add_f64 v[70:71], v[0:1], v[2:3]
	v_add_f64 v[0:1], v[18:19], v[46:47]
	v_add_f64 v[68:69], v[28:29], -v[36:37]
	v_fma_f64 v[60:61], -0.5, v[0:1], v[6:7]
	v_add_f64 v[66:67], v[16:17], -v[44:45]
	v_fma_f64 v[56:57], s[6:7], v[68:69], v[60:61]
	v_add_f64 v[0:1], v[30:31], -v[18:19]
	v_add_f64 v[2:3], v[38:39], -v[46:47]
	v_fmac_f64_e32 v[60:61], s[16:17], v[68:69]
	v_fmac_f64_e32 v[56:57], s[18:19], v[66:67]
	v_add_f64 v[0:1], v[0:1], v[2:3]
	v_fmac_f64_e32 v[60:61], s[0:1], v[66:67]
	v_fmac_f64_e32 v[56:57], s[14:15], v[0:1]
	;; [unrolled: 1-line block ×3, first 2 shown]
	v_add_f64 v[0:1], v[20:21], -v[32:33]
	s_waitcnt lgkmcnt(0)
	v_add_f64 v[2:3], v[48:49], -v[40:41]
	v_add_f64 v[78:79], v[0:1], v[2:3]
	v_add_f64 v[0:1], v[20:21], v[48:49]
	v_add_f64 v[76:77], v[34:35], -v[42:43]
	v_fma_f64 v[0:1], -0.5, v[0:1], v[8:9]
	v_add_f64 v[74:75], v[22:23], -v[50:51]
	v_fma_f64 v[2:3], s[16:17], v[76:77], v[0:1]
	v_add_f64 v[12:13], v[32:33], -v[20:21]
	v_add_f64 v[14:15], v[40:41], -v[48:49]
	v_fmac_f64_e32 v[0:1], s[6:7], v[76:77]
	v_fmac_f64_e32 v[2:3], s[0:1], v[74:75]
	v_add_f64 v[12:13], v[12:13], v[14:15]
	v_fmac_f64_e32 v[0:1], s[18:19], v[74:75]
	v_fmac_f64_e32 v[2:3], s[14:15], v[12:13]
	;; [unrolled: 1-line block ×3, first 2 shown]
	v_add_f64 v[12:13], v[22:23], -v[34:35]
	v_add_f64 v[14:15], v[50:51], -v[42:43]
	v_add_f64 v[92:93], v[12:13], v[14:15]
	v_add_f64 v[12:13], v[34:35], -v[22:23]
	v_add_f64 v[14:15], v[42:43], -v[50:51]
	v_add_f64 v[12:13], v[12:13], v[14:15]
	v_add_f64 v[14:15], v[22:23], v[50:51]
	v_fma_f64 v[14:15], -0.5, v[14:15], v[10:11]
	v_add_f64 v[100:101], v[32:33], -v[40:41]
	v_add_f64 v[98:99], v[20:21], -v[48:49]
	v_fma_f64 v[24:25], s[6:7], v[100:101], v[14:15]
	v_fmac_f64_e32 v[24:25], s[18:19], v[98:99]
	v_fmac_f64_e32 v[24:25], s[14:15], v[12:13]
	;; [unrolled: 1-line block ×4, first 2 shown]
	v_mul_f64 v[72:73], v[24:25], s[6:7]
	v_fmac_f64_e32 v[14:15], s[14:15], v[12:13]
	v_fmac_f64_e32 v[72:73], s[14:15], v[2:3]
	v_mul_f64 v[82:83], v[2:3], s[16:17]
	v_mul_f64 v[2:3], v[0:1], s[14:15]
	v_fma_f64 v[80:81], v[14:15], s[6:7], -v[2:3]
	v_mul_f64 v[2:3], v[14:15], s[14:15]
	v_fma_f64 v[84:85], v[0:1], s[16:17], -v[2:3]
	v_add_f64 v[0:1], v[32:33], v[40:41]
	v_fma_f64 v[106:107], -0.5, v[0:1], v[8:9]
	v_add_f64 v[2:3], v[34:35], v[42:43]
	v_fma_f64 v[0:1], s[16:17], v[74:75], v[106:107]
	v_fma_f64 v[108:109], -0.5, v[2:3], v[10:11]
	v_fmac_f64_e32 v[0:1], s[18:19], v[76:77]
	v_fma_f64 v[2:3], s[6:7], v[98:99], v[108:109]
	s_mov_b32 s20, 0x9b97f4a8
	v_fmac_f64_e32 v[0:1], s[14:15], v[78:79]
	v_fmac_f64_e32 v[2:3], s[0:1], v[100:101]
	s_mov_b32 s21, 0x3fe9e377
	v_fmac_f64_e32 v[2:3], s[14:15], v[92:93]
	v_mul_f64 v[12:13], v[0:1], s[20:21]
	v_fma_f64 v[86:87], v[2:3], s[0:1], -v[12:13]
	v_mul_f64 v[2:3], v[2:3], s[20:21]
	v_fma_f64 v[96:97], v[0:1], s[18:19], -v[2:3]
	v_add_f64 v[0:1], v[28:29], v[36:37]
	v_fma_f64 v[104:105], -0.5, v[0:1], v[4:5]
	v_add_f64 v[0:1], v[30:31], v[38:39]
	v_fma_f64 v[110:111], -0.5, v[0:1], v[6:7]
	v_fma_f64 v[94:95], s[16:17], v[58:59], v[104:105]
	v_fma_f64 v[102:103], s[6:7], v[66:67], v[110:111]
	v_fmac_f64_e32 v[94:95], s[18:19], v[62:63]
	v_fmac_f64_e32 v[102:103], s[0:1], v[68:69]
	;; [unrolled: 1-line block ×5, first 2 shown]
	v_add_f64 v[0:1], v[52:53], -v[72:73]
	v_add_f64 v[2:3], v[56:57], -v[82:83]
	;; [unrolled: 1-line block ×6, first 2 shown]
	v_mul_lo_u16_e32 v113, 10, v89
	s_barrier
	s_and_saveexec_b64 s[16:17], s[2:3]
	s_cbranch_execz .LBB0_7
; %bb.6:
	v_mul_f64 v[116:117], v[64:65], s[14:15]
	v_mul_f64 v[64:65], v[66:67], s[6:7]
	;; [unrolled: 1-line block ×3, first 2 shown]
	v_add_f64 v[64:65], v[110:111], -v[64:65]
	v_mul_f64 v[68:69], v[70:71], s[14:15]
	v_mul_f64 v[70:71], v[74:75], s[6:7]
	;; [unrolled: 1-line block ×5, first 2 shown]
	v_add_f64 v[64:65], v[64:65], -v[66:67]
	v_add_f64 v[6:7], v[6:7], v[18:19]
	v_add_f64 v[4:5], v[4:5], v[16:17]
	v_mul_f64 v[98:99], v[100:101], s[0:1]
	v_add_f64 v[66:67], v[68:69], v[64:65]
	v_add_f64 v[64:65], v[108:109], -v[78:79]
	v_add_f64 v[6:7], v[6:7], v[30:31]
	v_add_f64 v[4:5], v[4:5], v[28:29]
	v_mul_f64 v[92:93], v[92:93], s[14:15]
	v_add_f64 v[64:65], v[64:65], -v[98:99]
	v_add_f64 v[6:7], v[6:7], v[38:39]
	v_add_f64 v[4:5], v[4:5], v[36:37]
	;; [unrolled: 1-line block ×8, first 2 shown]
	v_mul_f64 v[58:59], v[58:59], s[6:7]
	v_add_f64 v[64:65], v[74:75], v[64:65]
	v_add_f64 v[6:7], v[6:7], v[34:35]
	;; [unrolled: 1-line block ×3, first 2 shown]
	v_mul_f64 v[62:63], v[62:63], s[0:1]
	v_add_f64 v[70:71], v[76:77], v[64:65]
	v_add_f64 v[6:7], v[6:7], v[42:43]
	;; [unrolled: 1-line block ×4, first 2 shown]
	v_mul_f64 v[64:65], v[70:71], s[0:1]
	v_add_f64 v[34:35], v[6:7], v[50:51]
	v_add_f64 v[10:11], v[62:63], v[10:11]
	v_mul_f64 v[46:47], v[70:71], s[20:21]
	v_add_f64 v[32:33], v[4:5], v[48:49]
	v_fma_f64 v[74:75], v[68:69], s[20:21], -v[64:65]
	v_add_f64 v[6:7], v[38:39], -v[34:35]
	v_add_f64 v[42:43], v[116:117], v[10:11]
	v_fmac_f64_e32 v[46:47], s[0:1], v[68:69]
	v_add_f64 v[4:5], v[36:37], -v[32:33]
	v_add_f64 v[34:35], v[38:39], v[34:35]
	v_add_f64 v[32:33], v[36:37], v[32:33]
	v_add_lshl_u32 v36, v114, v113, 4
	v_add_f64 v[64:65], v[66:67], -v[74:75]
	v_add_f64 v[62:63], v[42:43], -v[46:47]
	v_add_f64 v[10:11], v[102:103], v[96:97]
	v_add_f64 v[18:19], v[60:61], v[84:85]
	;; [unrolled: 1-line block ×8, first 2 shown]
	ds_write_b128 v36, v[32:35]
	ds_write_b128 v36, v[28:31] offset:16
	ds_write_b128 v36, v[20:23] offset:32
	;; [unrolled: 1-line block ×9, first 2 shown]
.LBB0_7:
	s_or_b64 exec, exec, s[16:17]
	s_movk_i32 s0, 0xcd
	v_mul_lo_u16_sdwa v4, v89, s0 dst_sel:DWORD dst_unused:UNUSED_PAD src0_sel:BYTE_0 src1_sel:DWORD
	v_lshrrev_b16_e32 v91, 11, v4
	v_mul_lo_u16_e32 v4, 10, v91
	v_sub_u16_e32 v92, v89, v4
	v_mov_b32_e32 v4, 6
	v_mul_u32_u24_sdwa v4, v92, v4 dst_sel:DWORD dst_unused:UNUSED_PAD src0_sel:BYTE_0 src1_sel:DWORD
	v_lshlrev_b32_e32 v36, 4, v4
	s_load_dwordx4 s[4:7], s[4:5], 0x0
	s_waitcnt lgkmcnt(0)
	s_barrier
	global_load_dwordx4 v[20:23], v36, s[10:11]
	global_load_dwordx4 v[16:19], v36, s[10:11] offset:16
	global_load_dwordx4 v[8:11], v36, s[10:11] offset:32
	;; [unrolled: 1-line block ×5, first 2 shown]
	v_add_lshl_u32 v95, v114, v89, 4
	ds_read_b128 v[36:39], v95
	ds_read_b128 v[40:43], v95 offset:1120
	ds_read_b128 v[44:47], v95 offset:2240
	;; [unrolled: 1-line block ×6, first 2 shown]
	s_mov_b32 s14, 0x37e14327
	s_mov_b32 s0, 0x36b3c0b5
	;; [unrolled: 1-line block ×20, first 2 shown]
	s_waitcnt lgkmcnt(0)
	s_barrier
	s_movk_i32 s33, 0x60
	v_lshl_add_u32 v94, v89, 4, v112
	s_waitcnt vmcnt(5)
	v_mul_f64 v[64:65], v[42:43], v[22:23]
	v_mul_f64 v[66:67], v[40:41], v[22:23]
	s_waitcnt vmcnt(4)
	v_mul_f64 v[68:69], v[46:47], v[18:19]
	s_waitcnt vmcnt(3)
	v_mul_f64 v[72:73], v[50:51], v[10:11]
	v_mul_f64 v[74:75], v[48:49], v[10:11]
	s_waitcnt vmcnt(1)
	v_mul_f64 v[80:81], v[58:59], v[34:35]
	s_waitcnt vmcnt(0)
	v_mul_f64 v[84:85], v[62:63], v[30:31]
	v_mul_f64 v[70:71], v[44:45], v[18:19]
	;; [unrolled: 1-line block ×5, first 2 shown]
	v_fma_f64 v[40:41], v[40:41], v[20:21], -v[64:65]
	v_fmac_f64_e32 v[66:67], v[42:43], v[20:21]
	v_fma_f64 v[42:43], v[44:45], v[16:17], -v[68:69]
	v_fma_f64 v[44:45], v[48:49], v[8:9], -v[72:73]
	v_fmac_f64_e32 v[74:75], v[50:51], v[8:9]
	v_fma_f64 v[48:49], v[56:57], v[32:33], -v[80:81]
	v_fma_f64 v[50:51], v[60:61], v[28:29], -v[84:85]
	v_mul_f64 v[78:79], v[52:53], v[6:7]
	v_fmac_f64_e32 v[70:71], v[46:47], v[16:17]
	v_fma_f64 v[46:47], v[52:53], v[4:5], -v[76:77]
	v_fmac_f64_e32 v[82:83], v[58:59], v[32:33]
	v_fmac_f64_e32 v[86:87], v[62:63], v[28:29]
	v_add_f64 v[52:53], v[40:41], v[50:51]
	v_add_f64 v[56:57], v[42:43], v[48:49]
	v_fmac_f64_e32 v[78:79], v[54:55], v[4:5]
	v_add_f64 v[54:55], v[66:67], v[86:87]
	v_add_f64 v[58:59], v[70:71], v[82:83]
	;; [unrolled: 1-line block ×4, first 2 shown]
	v_add_f64 v[40:41], v[40:41], -v[50:51]
	v_add_f64 v[50:51], v[66:67], -v[86:87]
	v_add_f64 v[62:63], v[74:75], v[78:79]
	v_add_f64 v[66:67], v[58:59], v[54:55]
	v_add_f64 v[68:69], v[56:57], -v[52:53]
	v_add_f64 v[52:53], v[52:53], -v[60:61]
	;; [unrolled: 1-line block ×3, first 2 shown]
	v_add_f64 v[60:61], v[60:61], v[64:65]
	v_add_f64 v[42:43], v[42:43], -v[48:49]
	v_add_f64 v[48:49], v[70:71], -v[82:83]
	;; [unrolled: 1-line block ×5, first 2 shown]
	v_add_f64 v[62:63], v[62:63], v[66:67]
	v_add_f64 v[36:37], v[36:37], v[60:61]
	;; [unrolled: 1-line block ×3, first 2 shown]
	v_mov_b64_e32 v[80:81], v[36:37]
	v_add_f64 v[44:45], v[46:47], -v[44:45]
	v_add_f64 v[46:47], v[78:79], -v[74:75]
	v_mul_f64 v[52:53], v[52:53], s[14:15]
	v_mul_f64 v[54:55], v[54:55], s[14:15]
	;; [unrolled: 1-line block ×4, first 2 shown]
	v_fmac_f64_e32 v[80:81], s[20:21], v[60:61]
	v_mov_b64_e32 v[60:61], v[38:39]
	v_add_f64 v[72:73], v[44:45], v[42:43]
	v_add_f64 v[74:75], v[46:47], v[48:49]
	v_add_f64 v[76:77], v[44:45], -v[42:43]
	v_add_f64 v[78:79], v[46:47], -v[48:49]
	;; [unrolled: 1-line block ×4, first 2 shown]
	v_fmac_f64_e32 v[60:61], s[20:21], v[62:63]
	v_fma_f64 v[62:63], v[68:69], s[22:23], -v[64:65]
	v_fma_f64 v[64:65], v[70:71], s[22:23], -v[66:67]
	;; [unrolled: 1-line block ×3, first 2 shown]
	v_fmac_f64_e32 v[52:53], s[0:1], v[56:57]
	v_fma_f64 v[56:57], v[70:71], s[24:25], -v[54:55]
	v_fmac_f64_e32 v[54:55], s[0:1], v[58:59]
	v_add_f64 v[44:45], v[40:41], -v[44:45]
	v_add_f64 v[46:47], v[50:51], -v[46:47]
	v_add_f64 v[40:41], v[72:73], v[40:41]
	v_add_f64 v[50:51], v[74:75], v[50:51]
	v_mul_f64 v[72:73], v[76:77], s[18:19]
	v_mul_f64 v[74:75], v[78:79], s[18:19]
	v_mul_f64 v[76:77], v[42:43], s[16:17]
	v_mul_f64 v[78:79], v[48:49], s[16:17]
	v_add_f64 v[82:83], v[54:55], v[60:61]
	v_add_f64 v[54:55], v[64:65], v[60:61]
	v_mul_u32_u24_e32 v64, 0x46, v91
	v_fma_f64 v[58:59], v[42:43], s[16:17], -v[72:73]
	v_fmac_f64_e32 v[72:73], s[26:27], v[44:45]
	v_fma_f64 v[68:69], v[48:49], s[16:17], -v[74:75]
	v_fmac_f64_e32 v[74:75], s[26:27], v[46:47]
	v_fma_f64 v[70:71], v[44:45], s[30:31], -v[76:77]
	v_fma_f64 v[76:77], v[46:47], s[30:31], -v[78:79]
	v_add_u32_sdwa v64, v64, v92 dst_sel:DWORD dst_unused:UNUSED_PAD src0_sel:DWORD src1_sel:BYTE_0
	v_add_f64 v[78:79], v[52:53], v[80:81]
	v_add_f64 v[52:53], v[62:63], v[80:81]
	;; [unrolled: 1-line block ×4, first 2 shown]
	v_fmac_f64_e32 v[72:73], s[28:29], v[40:41]
	v_fmac_f64_e32 v[74:75], s[28:29], v[50:51]
	;; [unrolled: 1-line block ×6, first 2 shown]
	v_add_lshl_u32 v96, v114, v64, 4
	v_add_f64 v[40:41], v[74:75], v[78:79]
	v_add_f64 v[42:43], v[82:83], -v[72:73]
	v_add_f64 v[44:45], v[76:77], v[62:63]
	v_add_f64 v[46:47], v[60:61], -v[70:71]
	v_add_f64 v[48:49], v[52:53], -v[68:69]
	v_add_f64 v[50:51], v[58:59], v[54:55]
	v_add_f64 v[52:53], v[68:69], v[52:53]
	v_add_f64 v[54:55], v[54:55], -v[58:59]
	v_add_f64 v[56:57], v[62:63], -v[76:77]
	v_add_f64 v[58:59], v[70:71], v[60:61]
	v_add_f64 v[60:61], v[78:79], -v[74:75]
	v_add_f64 v[62:63], v[72:73], v[82:83]
	ds_write_b128 v96, v[36:39]
	ds_write_b128 v96, v[40:43] offset:160
	ds_write_b128 v96, v[44:47] offset:320
	;; [unrolled: 1-line block ×6, first 2 shown]
	v_mov_b64_e32 v[36:37], s[10:11]
	v_mad_u64_u32 v[60:61], s[10:11], v89, s33, v[36:37]
	s_waitcnt lgkmcnt(0)
	s_barrier
	global_load_dwordx4 v[48:51], v[60:61], off offset:960
	global_load_dwordx4 v[44:47], v[60:61], off offset:976
	;; [unrolled: 1-line block ×6, first 2 shown]
	ds_read_b128 v[60:63], v95
	ds_read_b128 v[64:67], v95 offset:1120
	ds_read_b128 v[68:71], v95 offset:2240
	;; [unrolled: 1-line block ×6, first 2 shown]
	s_waitcnt vmcnt(5) lgkmcnt(5)
	v_mul_f64 v[92:93], v[66:67], v[50:51]
	v_fma_f64 v[92:93], v[64:65], v[48:49], -v[92:93]
	v_mul_f64 v[64:65], v[64:65], v[50:51]
	v_fmac_f64_e32 v[64:65], v[66:67], v[48:49]
	s_waitcnt vmcnt(4) lgkmcnt(4)
	v_mul_f64 v[66:67], v[70:71], v[46:47]
	v_fma_f64 v[66:67], v[68:69], v[44:45], -v[66:67]
	v_mul_f64 v[68:69], v[68:69], v[46:47]
	v_fmac_f64_e32 v[68:69], v[70:71], v[44:45]
	s_waitcnt vmcnt(3) lgkmcnt(3)
	v_mul_f64 v[70:71], v[74:75], v[42:43]
	v_fma_f64 v[70:71], v[72:73], v[40:41], -v[70:71]
	v_mul_f64 v[72:73], v[72:73], v[42:43]
	v_fmac_f64_e32 v[72:73], v[74:75], v[40:41]
	s_waitcnt vmcnt(2) lgkmcnt(2)
	v_mul_f64 v[74:75], v[78:79], v[38:39]
	v_fma_f64 v[74:75], v[76:77], v[36:37], -v[74:75]
	v_mul_f64 v[76:77], v[76:77], v[38:39]
	v_fmac_f64_e32 v[76:77], v[78:79], v[36:37]
	s_waitcnt vmcnt(1) lgkmcnt(1)
	v_mul_f64 v[78:79], v[82:83], v[58:59]
	v_fma_f64 v[78:79], v[80:81], v[56:57], -v[78:79]
	v_mul_f64 v[80:81], v[80:81], v[58:59]
	v_fmac_f64_e32 v[80:81], v[82:83], v[56:57]
	s_waitcnt vmcnt(0) lgkmcnt(0)
	v_mul_f64 v[82:83], v[86:87], v[54:55]
	v_fma_f64 v[82:83], v[84:85], v[52:53], -v[82:83]
	v_mul_f64 v[84:85], v[84:85], v[54:55]
	v_fmac_f64_e32 v[84:85], v[86:87], v[52:53]
	v_add_f64 v[86:87], v[92:93], v[82:83]
	v_add_f64 v[98:99], v[64:65], v[84:85]
	v_add_f64 v[82:83], v[92:93], -v[82:83]
	v_add_f64 v[64:65], v[64:65], -v[84:85]
	v_add_f64 v[84:85], v[66:67], v[78:79]
	v_add_f64 v[92:93], v[68:69], v[80:81]
	v_add_f64 v[66:67], v[66:67], -v[78:79]
	v_add_f64 v[68:69], v[68:69], -v[80:81]
	;; [unrolled: 4-line block ×4, first 2 shown]
	v_add_f64 v[86:87], v[86:87], -v[78:79]
	v_add_f64 v[98:99], v[98:99], -v[80:81]
	;; [unrolled: 1-line block ×4, first 2 shown]
	v_add_f64 v[104:105], v[70:71], v[66:67]
	v_add_f64 v[106:107], v[72:73], v[68:69]
	v_add_f64 v[108:109], v[70:71], -v[66:67]
	v_add_f64 v[110:111], v[72:73], -v[68:69]
	;; [unrolled: 1-line block ×4, first 2 shown]
	v_add_f64 v[74:75], v[78:79], v[74:75]
	v_add_f64 v[76:77], v[80:81], v[76:77]
	v_add_f64 v[70:71], v[82:83], -v[70:71]
	v_add_f64 v[72:73], v[64:65], -v[72:73]
	v_add_f64 v[78:79], v[104:105], v[82:83]
	v_add_f64 v[64:65], v[106:107], v[64:65]
	;; [unrolled: 1-line block ×4, first 2 shown]
	v_mul_f64 v[80:81], v[86:87], s[14:15]
	v_mul_f64 v[82:83], v[98:99], s[14:15]
	;; [unrolled: 1-line block ×8, first 2 shown]
	v_fma_f64 v[74:75], s[20:21], v[74:75], v[60:61]
	v_fma_f64 v[76:77], s[20:21], v[76:77], v[62:63]
	;; [unrolled: 1-line block ×3, first 2 shown]
	v_fma_f64 v[86:87], v[100:101], s[22:23], -v[86:87]
	v_fma_f64 v[98:99], v[102:103], s[22:23], -v[98:99]
	;; [unrolled: 1-line block ×4, first 2 shown]
	v_fmac_f64_e32 v[82:83], s[0:1], v[92:93]
	v_fma_f64 v[92:93], s[26:27], v[70:71], v[104:105]
	v_fma_f64 v[102:103], v[66:67], s[16:17], -v[104:105]
	v_fma_f64 v[104:105], v[68:69], s[16:17], -v[106:107]
	v_fmac_f64_e32 v[106:107], s[26:27], v[72:73]
	v_fma_f64 v[108:109], v[70:71], s[30:31], -v[108:109]
	v_fma_f64 v[110:111], v[72:73], s[30:31], -v[110:111]
	v_add_f64 v[84:85], v[84:85], v[74:75]
	v_add_f64 v[114:115], v[82:83], v[76:77]
	;; [unrolled: 1-line block ×6, first 2 shown]
	v_fmac_f64_e32 v[92:93], s[28:29], v[78:79]
	v_fmac_f64_e32 v[106:107], s[28:29], v[64:65]
	;; [unrolled: 1-line block ×6, first 2 shown]
	v_add_f64 v[64:65], v[106:107], v[84:85]
	v_add_f64 v[66:67], v[114:115], -v[92:93]
	v_add_f64 v[68:69], v[110:111], v[80:81]
	v_add_f64 v[70:71], v[98:99], -v[108:109]
	v_add_f64 v[72:73], v[82:83], -v[104:105]
	v_add_f64 v[74:75], v[102:103], v[86:87]
	v_add_f64 v[76:77], v[104:105], v[82:83]
	v_add_f64 v[78:79], v[86:87], -v[102:103]
	v_add_f64 v[80:81], v[80:81], -v[110:111]
	v_add_f64 v[82:83], v[108:109], v[98:99]
	v_add_f64 v[84:85], v[84:85], -v[106:107]
	v_add_f64 v[86:87], v[92:93], v[114:115]
	ds_write_b128 v94, v[60:63]
	ds_write_b128 v94, v[64:67] offset:1120
	ds_write_b128 v94, v[68:71] offset:2240
	ds_write_b128 v94, v[72:75] offset:3360
	ds_write_b128 v94, v[76:79] offset:4480
	ds_write_b128 v94, v[80:83] offset:5600
	ds_write_b128 v94, v[84:87] offset:6720
	s_waitcnt lgkmcnt(0)
	s_barrier
	s_and_saveexec_b64 s[0:1], s[2:3]
	s_cbranch_execz .LBB0_9
; %bb.8:
	v_mov_b32_e32 v91, 0
	v_lshl_add_u64 v[92:93], s[8:9], 0, v[90:91]
	v_add_co_u32_e32 v102, vcc, 0x1000, v92
	ds_read_b128 v[98:101], v94
	s_nop 0
	v_addc_co_u32_e32 v103, vcc, 0, v93, vcc
	global_load_dwordx4 v[102:105], v[102:103], off offset:3744
	s_mov_b64 s[10:11], 0x1ea0
	v_lshl_add_u64 v[110:111], v[92:93], 0, s[10:11]
	s_movk_i32 s10, 0x3000
	v_add_co_u32_e32 v92, vcc, s10, v92
	s_waitcnt vmcnt(0) lgkmcnt(0)
	v_mul_f64 v[106:107], v[100:101], v[104:105]
	v_mul_f64 v[108:109], v[98:99], v[104:105]
	v_fma_f64 v[106:107], v[98:99], v[102:103], -v[106:107]
	v_fmac_f64_e32 v[108:109], v[100:101], v[102:103]
	global_load_dwordx4 v[102:105], v[110:111], off offset:784
	ds_read_b128 v[98:101], v94 offset:784
	ds_write_b128 v94, v[106:109]
	v_addc_co_u32_e32 v93, vcc, 0, v93, vcc
	s_waitcnt vmcnt(0) lgkmcnt(1)
	v_mul_f64 v[106:107], v[100:101], v[104:105]
	v_mul_f64 v[108:109], v[98:99], v[104:105]
	v_fma_f64 v[106:107], v[98:99], v[102:103], -v[106:107]
	v_fmac_f64_e32 v[108:109], v[100:101], v[102:103]
	global_load_dwordx4 v[102:105], v[110:111], off offset:1568
	ds_read_b128 v[98:101], v94 offset:1568
	ds_write_b128 v94, v[106:109] offset:784
	s_waitcnt vmcnt(0) lgkmcnt(1)
	v_mul_f64 v[106:107], v[100:101], v[104:105]
	v_mul_f64 v[108:109], v[98:99], v[104:105]
	v_fma_f64 v[106:107], v[98:99], v[102:103], -v[106:107]
	v_fmac_f64_e32 v[108:109], v[100:101], v[102:103]
	global_load_dwordx4 v[102:105], v[110:111], off offset:2352
	ds_read_b128 v[98:101], v94 offset:2352
	ds_write_b128 v94, v[106:109] offset:1568
	s_waitcnt vmcnt(0) lgkmcnt(1)
	v_mul_f64 v[106:107], v[100:101], v[104:105]
	v_mul_f64 v[108:109], v[98:99], v[104:105]
	v_fma_f64 v[106:107], v[98:99], v[102:103], -v[106:107]
	v_fmac_f64_e32 v[108:109], v[100:101], v[102:103]
	global_load_dwordx4 v[102:105], v[110:111], off offset:3136
	ds_read_b128 v[98:101], v94 offset:3136
	ds_write_b128 v94, v[106:109] offset:2352
	s_waitcnt vmcnt(0) lgkmcnt(1)
	v_mul_f64 v[106:107], v[100:101], v[104:105]
	v_mul_f64 v[108:109], v[98:99], v[104:105]
	v_fma_f64 v[106:107], v[98:99], v[102:103], -v[106:107]
	v_fmac_f64_e32 v[108:109], v[100:101], v[102:103]
	global_load_dwordx4 v[102:105], v[110:111], off offset:3920
	ds_read_b128 v[98:101], v94 offset:3920
	ds_write_b128 v94, v[106:109] offset:3136
	s_waitcnt vmcnt(0) lgkmcnt(1)
	v_mul_f64 v[106:107], v[100:101], v[104:105]
	v_mul_f64 v[108:109], v[98:99], v[104:105]
	v_fma_f64 v[106:107], v[98:99], v[102:103], -v[106:107]
	v_fmac_f64_e32 v[108:109], v[100:101], v[102:103]
	global_load_dwordx4 v[102:105], v[92:93], off offset:256
	ds_read_b128 v[98:101], v94 offset:4704
	ds_write_b128 v94, v[106:109] offset:3920
	s_waitcnt vmcnt(0) lgkmcnt(1)
	v_mul_f64 v[106:107], v[100:101], v[104:105]
	v_mul_f64 v[108:109], v[98:99], v[104:105]
	v_fma_f64 v[106:107], v[98:99], v[102:103], -v[106:107]
	v_fmac_f64_e32 v[108:109], v[100:101], v[102:103]
	global_load_dwordx4 v[102:105], v[92:93], off offset:1040
	ds_read_b128 v[98:101], v94 offset:5488
	ds_write_b128 v94, v[106:109] offset:4704
	s_waitcnt vmcnt(0) lgkmcnt(1)
	v_mul_f64 v[106:107], v[100:101], v[104:105]
	v_mul_f64 v[108:109], v[98:99], v[104:105]
	v_fma_f64 v[106:107], v[98:99], v[102:103], -v[106:107]
	v_fmac_f64_e32 v[108:109], v[100:101], v[102:103]
	global_load_dwordx4 v[102:105], v[92:93], off offset:1824
	ds_read_b128 v[98:101], v94 offset:6272
	ds_write_b128 v94, v[106:109] offset:5488
	s_waitcnt vmcnt(0) lgkmcnt(1)
	v_mul_f64 v[106:107], v[100:101], v[104:105]
	v_mul_f64 v[108:109], v[98:99], v[104:105]
	v_fma_f64 v[106:107], v[98:99], v[102:103], -v[106:107]
	v_fmac_f64_e32 v[108:109], v[100:101], v[102:103]
	global_load_dwordx4 v[102:105], v[92:93], off offset:2608
	ds_read_b128 v[98:101], v94 offset:7056
	ds_write_b128 v94, v[106:109] offset:6272
	s_waitcnt vmcnt(0) lgkmcnt(1)
	v_mul_f64 v[92:93], v[100:101], v[104:105]
	v_mul_f64 v[108:109], v[98:99], v[104:105]
	v_fma_f64 v[106:107], v[98:99], v[102:103], -v[92:93]
	v_fmac_f64_e32 v[108:109], v[100:101], v[102:103]
	ds_write_b128 v94, v[106:109] offset:7056
.LBB0_9:
	s_or_b64 exec, exec, s[0:1]
	s_waitcnt lgkmcnt(0)
	s_barrier
	s_and_saveexec_b64 s[0:1], s[2:3]
	s_cbranch_execz .LBB0_11
; %bb.10:
	ds_read_b128 v[60:63], v94
	ds_read_b128 v[64:67], v94 offset:784
	ds_read_b128 v[68:71], v94 offset:1568
	;; [unrolled: 1-line block ×9, first 2 shown]
.LBB0_11:
	s_or_b64 exec, exec, s[0:1]
	s_waitcnt lgkmcnt(0)
	s_barrier
	s_and_saveexec_b64 s[0:1], s[2:3]
	s_cbranch_execz .LBB0_13
; %bb.12:
	v_add_f64 v[100:101], v[72:73], -v[80:81]
	v_add_f64 v[104:105], v[24:25], -v[0:1]
	v_add_f64 v[106:107], v[100:101], v[104:105]
	v_add_f64 v[100:101], v[80:81], v[0:1]
	v_fma_f64 v[114:115], -0.5, v[100:101], v[64:65]
	v_add_f64 v[100:101], v[74:75], -v[82:83]
	v_add_f64 v[104:105], v[26:27], -v[2:3]
	;; [unrolled: 1-line block ×4, first 2 shown]
	v_add_f64 v[124:125], v[100:101], v[104:105]
	v_add_f64 v[104:105], v[78:79], -v[70:71]
	v_add_f64 v[108:109], v[86:87], -v[14:15]
	v_add_f64 v[92:93], v[92:93], v[98:99]
	v_add_f64 v[98:99], v[78:79], v[86:87]
	;; [unrolled: 1-line block ×4, first 2 shown]
	v_fma_f64 v[110:111], -0.5, v[98:99], v[62:63]
	s_mov_b32 s10, 0x134454ff
	v_fma_f64 v[136:137], -0.5, v[104:105], v[62:63]
	v_add_f64 v[104:105], v[80:81], -v[72:73]
	v_add_f64 v[140:141], v[0:1], -v[24:25]
	v_add_f64 v[62:63], v[62:63], v[70:71]
	s_mov_b32 s11, 0xbfee6f0e
	s_mov_b32 s14, 0x4755a5e
	v_add_f64 v[116:117], v[74:75], -v[26:27]
	s_mov_b32 s19, 0x3fee6f0e
	s_mov_b32 s18, s10
	v_add_f64 v[140:141], v[104:105], v[140:141]
	v_add_f64 v[104:105], v[72:73], v[24:25]
	;; [unrolled: 1-line block ×3, first 2 shown]
	s_mov_b32 s15, 0xbfe2cf23
	v_fma_f64 v[120:121], s[18:19], v[116:117], v[114:115]
	v_add_f64 v[122:123], v[82:83], -v[2:3]
	s_mov_b32 s21, 0x3fe2cf23
	s_mov_b32 s20, s14
	v_fma_f64 v[142:143], -0.5, v[104:105], v[64:65]
	v_fmac_f64_e32 v[114:115], s[10:11], v[116:117]
	v_add_f64 v[62:63], v[62:63], v[86:87]
	v_fmac_f64_e32 v[120:121], s[20:21], v[122:123]
	v_add_f64 v[100:101], v[82:83], v[2:3]
	v_fma_f64 v[144:145], s[10:11], v[122:123], v[142:143]
	v_fmac_f64_e32 v[142:143], s[18:19], v[122:123]
	v_fmac_f64_e32 v[114:115], s[14:15], v[122:123]
	v_add_f64 v[122:123], v[62:63], v[14:15]
	v_add_f64 v[62:63], v[66:67], v[74:75]
	v_fma_f64 v[126:127], -0.5, v[100:101], v[66:67]
	v_add_f64 v[128:129], v[72:73], -v[24:25]
	v_add_f64 v[104:105], v[82:83], -v[74:75]
	;; [unrolled: 1-line block ×3, first 2 shown]
	v_add_f64 v[62:63], v[62:63], v[82:83]
	s_mov_b32 s16, 0x372fe950
	v_fma_f64 v[130:131], s[10:11], v[128:129], v[126:127]
	v_add_f64 v[132:133], v[80:81], -v[0:1]
	v_add_f64 v[146:147], v[104:105], v[146:147]
	v_add_f64 v[104:105], v[74:75], v[26:27]
	;; [unrolled: 1-line block ×3, first 2 shown]
	s_mov_b32 s17, 0x3fd3c6ef
	v_fmac_f64_e32 v[130:131], s[14:15], v[132:133]
	s_mov_b32 s22, 0x9b97f4a8
	v_fma_f64 v[148:149], -0.5, v[104:105], v[66:67]
	v_add_f64 v[74:75], v[2:3], v[26:27]
	v_add_f64 v[26:27], v[68:69], -v[76:77]
	v_add_f64 v[62:63], v[12:13], -v[84:85]
	v_add_f64 v[14:15], v[70:71], -v[14:15]
	v_add_f64 v[66:67], v[76:77], -v[68:69]
	v_add_f64 v[70:71], v[84:85], -v[12:13]
	v_fmac_f64_e32 v[130:131], s[16:17], v[124:125]
	s_mov_b32 s23, 0xbfe9e377
	v_add_f64 v[26:27], v[26:27], v[62:63]
	v_add_f64 v[62:63], v[76:77], v[84:85]
	;; [unrolled: 1-line block ×4, first 2 shown]
	v_fmac_f64_e32 v[120:121], s[16:17], v[106:107]
	v_mul_f64 v[134:135], v[130:131], s[22:23]
	v_fmac_f64_e32 v[126:127], s[18:19], v[128:129]
	v_fma_f64 v[82:83], -0.5, v[62:63], v[60:61]
	v_add_f64 v[62:63], v[78:79], -v[86:87]
	v_mul_f64 v[78:79], v[130:131], s[14:15]
	v_fma_f64 v[86:87], -0.5, v[70:71], v[60:61]
	v_fmac_f64_e32 v[134:135], s[20:21], v[120:121]
	v_fmac_f64_e32 v[126:127], s[20:21], v[132:133]
	;; [unrolled: 1-line block ×3, first 2 shown]
	v_fma_f64 v[120:121], s[10:11], v[62:63], v[86:87]
	v_fmac_f64_e32 v[86:87], s[18:19], v[62:63]
	v_fmac_f64_e32 v[126:127], s[16:17], v[124:125]
	v_fma_f64 v[124:125], s[18:19], v[14:15], v[82:83]
	v_fmac_f64_e32 v[120:121], s[20:21], v[14:15]
	v_fmac_f64_e32 v[86:87], s[14:15], v[14:15]
	;; [unrolled: 1-line block ×3, first 2 shown]
	v_add_f64 v[14:15], v[60:61], v[68:69]
	v_add_f64 v[14:15], v[14:15], v[76:77]
	v_add_f64 v[98:99], v[68:69], -v[12:13]
	v_add_f64 v[14:15], v[14:15], v[84:85]
	v_fma_f64 v[118:119], s[10:11], v[98:99], v[110:111]
	v_add_f64 v[102:103], v[76:77], -v[84:85]
	v_fma_f64 v[150:151], s[18:19], v[132:133], v[148:149]
	v_fmac_f64_e32 v[148:149], s[10:11], v[132:133]
	v_fmac_f64_e32 v[110:111], s[18:19], v[98:99]
	v_add_f64 v[68:69], v[14:15], v[12:13]
	v_add_f64 v[12:13], v[64:65], v[72:73]
	v_fmac_f64_e32 v[118:119], s[14:15], v[102:103]
	v_fmac_f64_e32 v[150:151], s[14:15], v[128:129]
	;; [unrolled: 1-line block ×5, first 2 shown]
	v_add_f64 v[12:13], v[12:13], v[80:81]
	v_fmac_f64_e32 v[118:119], s[16:17], v[92:93]
	v_fma_f64 v[138:139], s[18:19], v[102:103], v[136:137]
	v_fmac_f64_e32 v[144:145], s[20:21], v[116:117]
	v_fmac_f64_e32 v[150:151], s[16:17], v[146:147]
	s_mov_b32 s25, 0xbfd3c6ef
	s_mov_b32 s24, s16
	v_fmac_f64_e32 v[136:137], s[10:11], v[102:103]
	v_fmac_f64_e32 v[142:143], s[14:15], v[116:117]
	;; [unrolled: 1-line block ×4, first 2 shown]
	v_mul_f64 v[92:93], v[114:115], s[20:21]
	s_mov_b32 s27, 0x3fe9e377
	s_mov_b32 s26, s22
	v_add_f64 v[0:1], v[12:13], v[0:1]
	v_fmac_f64_e32 v[138:139], s[14:15], v[98:99]
	v_fmac_f64_e32 v[144:145], s[16:17], v[140:141]
	v_mul_f64 v[152:153], v[150:151], s[24:25]
	v_fmac_f64_e32 v[136:137], s[20:21], v[98:99]
	v_fmac_f64_e32 v[142:143], s[16:17], v[140:141]
	v_mul_f64 v[140:141], v[148:149], s[16:17]
	;; [unrolled: 3-line block ×3, first 2 shown]
	v_mul_f64 v[130:131], v[148:149], s[10:11]
	v_fmac_f64_e32 v[82:83], s[14:15], v[62:63]
	v_mul_f64 v[126:127], v[126:127], s[14:15]
	v_add_f64 v[72:73], v[0:1], v[24:25]
	v_fmac_f64_e32 v[138:139], s[16:17], v[108:109]
	v_fmac_f64_e32 v[152:153], s[18:19], v[144:145]
	;; [unrolled: 1-line block ×11, first 2 shown]
	v_add_f64 v[0:1], v[68:69], -v[72:73]
	v_add_f64 v[70:71], v[122:123], v[74:75]
	v_add_f64 v[68:69], v[68:69], v[72:73]
	v_lshl_add_u32 v72, v113, 4, v112
	v_add_f64 v[100:101], v[118:119], -v[134:135]
	v_add_f64 v[104:105], v[138:139], -v[152:153]
	;; [unrolled: 1-line block ×9, first 2 shown]
	v_add_f64 v[14:15], v[118:119], v[134:135]
	v_add_f64 v[26:27], v[138:139], v[152:153]
	;; [unrolled: 1-line block ×8, first 2 shown]
	ds_write_b128 v72, v[68:71]
	ds_write_b128 v72, v[64:67] offset:16
	ds_write_b128 v72, v[60:63] offset:32
	;; [unrolled: 1-line block ×9, first 2 shown]
.LBB0_13:
	s_or_b64 exec, exec, s[0:1]
	s_waitcnt lgkmcnt(0)
	s_barrier
	ds_read_b128 v[0:3], v95
	ds_read_b128 v[12:15], v95 offset:1120
	ds_read_b128 v[24:27], v95 offset:2240
	;; [unrolled: 1-line block ×6, first 2 shown]
	s_waitcnt lgkmcnt(5)
	v_mul_f64 v[76:77], v[22:23], v[14:15]
	v_fmac_f64_e32 v[76:77], v[20:21], v[12:13]
	v_mul_f64 v[12:13], v[22:23], v[12:13]
	v_fma_f64 v[12:13], v[20:21], v[14:15], -v[12:13]
	s_waitcnt lgkmcnt(4)
	v_mul_f64 v[14:15], v[18:19], v[26:27]
	v_mul_f64 v[18:19], v[18:19], v[24:25]
	v_fmac_f64_e32 v[14:15], v[16:17], v[24:25]
	v_fma_f64 v[16:17], v[16:17], v[26:27], -v[18:19]
	s_waitcnt lgkmcnt(3)
	v_mul_f64 v[18:19], v[10:11], v[62:63]
	v_mul_f64 v[10:11], v[10:11], v[60:61]
	v_fmac_f64_e32 v[18:19], v[8:9], v[60:61]
	;; [unrolled: 5-line block ×3, first 2 shown]
	v_fma_f64 v[4:5], v[4:5], v[66:67], -v[6:7]
	s_waitcnt lgkmcnt(1)
	v_mul_f64 v[6:7], v[34:35], v[70:71]
	s_waitcnt lgkmcnt(0)
	v_mul_f64 v[22:23], v[30:31], v[74:75]
	v_mul_f64 v[24:25], v[30:31], v[72:73]
	v_fmac_f64_e32 v[6:7], v[32:33], v[68:69]
	v_mul_f64 v[20:21], v[34:35], v[68:69]
	v_fmac_f64_e32 v[22:23], v[28:29], v[72:73]
	v_fma_f64 v[24:25], v[28:29], v[74:75], -v[24:25]
	v_fma_f64 v[20:21], v[32:33], v[70:71], -v[20:21]
	v_add_f64 v[26:27], v[76:77], v[22:23]
	v_add_f64 v[28:29], v[12:13], v[24:25]
	v_add_f64 v[12:13], v[12:13], -v[24:25]
	v_add_f64 v[24:25], v[14:15], v[6:7]
	v_add_f64 v[30:31], v[16:17], v[20:21]
	v_add_f64 v[6:7], v[14:15], -v[6:7]
	v_add_f64 v[14:15], v[16:17], -v[20:21]
	v_add_f64 v[16:17], v[18:19], v[10:11]
	v_add_f64 v[20:21], v[8:9], v[4:5]
	v_add_f64 v[4:5], v[4:5], -v[8:9]
	v_add_f64 v[8:9], v[24:25], v[26:27]
	v_add_f64 v[10:11], v[10:11], -v[18:19]
	v_add_f64 v[18:19], v[30:31], v[28:29]
	v_add_f64 v[8:9], v[16:17], v[8:9]
	v_add_f64 v[22:23], v[76:77], -v[22:23]
	v_add_f64 v[32:33], v[24:25], -v[26:27]
	;; [unrolled: 1-line block ×4, first 2 shown]
	v_add_f64 v[16:17], v[20:21], v[18:19]
	v_add_f64 v[0:1], v[0:1], v[8:9]
	s_mov_b32 s10, 0x37e14327
	s_mov_b32 s0, 0x36b3c0b5
	;; [unrolled: 1-line block ×5, first 2 shown]
	v_add_f64 v[34:35], v[30:31], -v[28:29]
	v_add_f64 v[28:29], v[28:29], -v[20:21]
	;; [unrolled: 1-line block ×3, first 2 shown]
	v_add_f64 v[60:61], v[10:11], v[6:7]
	v_add_f64 v[62:63], v[4:5], v[14:15]
	v_add_f64 v[64:65], v[10:11], -v[6:7]
	v_add_f64 v[66:67], v[4:5], -v[14:15]
	;; [unrolled: 1-line block ×4, first 2 shown]
	v_add_f64 v[2:3], v[2:3], v[16:17]
	s_mov_b32 s11, 0x3fe948f6
	s_mov_b32 s1, 0x3fac98ee
	;; [unrolled: 1-line block ×5, first 2 shown]
	v_mov_b64_e32 v[68:69], v[0:1]
	s_mov_b32 s20, 0x5476071b
	s_mov_b32 s24, 0xb247c609
	v_add_f64 v[10:11], v[22:23], -v[10:11]
	v_add_f64 v[4:5], v[12:13], -v[4:5]
	v_add_f64 v[18:19], v[60:61], v[22:23]
	v_add_f64 v[12:13], v[62:63], v[12:13]
	v_mul_f64 v[20:21], v[26:27], s[10:11]
	v_mul_f64 v[22:23], v[28:29], s[10:11]
	;; [unrolled: 1-line block ×8, first 2 shown]
	v_fmac_f64_e32 v[68:69], s[18:19], v[8:9]
	v_mov_b64_e32 v[8:9], v[2:3]
	s_mov_b32 s21, 0x3fe77f67
	s_mov_b32 s23, 0xbfe77f67
	;; [unrolled: 1-line block ×7, first 2 shown]
	v_fmac_f64_e32 v[8:9], s[18:19], v[16:17]
	v_fma_f64 v[16:17], v[32:33], s[20:21], -v[26:27]
	v_fma_f64 v[26:27], v[34:35], s[20:21], -v[28:29]
	;; [unrolled: 1-line block ×3, first 2 shown]
	v_fmac_f64_e32 v[20:21], s[0:1], v[24:25]
	v_fma_f64 v[24:25], v[34:35], s[22:23], -v[22:23]
	v_fmac_f64_e32 v[22:23], s[0:1], v[30:31]
	v_fma_f64 v[30:31], v[6:7], s[14:15], -v[60:61]
	;; [unrolled: 2-line block ×4, first 2 shown]
	v_fma_f64 v[64:65], v[4:5], s[28:29], -v[66:67]
	s_mov_b32 s27, 0xbfdc38aa
	v_add_f64 v[66:67], v[20:21], v[68:69]
	v_add_f64 v[70:71], v[22:23], v[8:9]
	v_add_f64 v[16:17], v[16:17], v[68:69]
	v_add_f64 v[20:21], v[26:27], v[8:9]
	v_add_f64 v[22:23], v[28:29], v[68:69]
	v_add_f64 v[24:25], v[24:25], v[8:9]
	v_fmac_f64_e32 v[60:61], s[26:27], v[18:19]
	v_fmac_f64_e32 v[62:63], s[26:27], v[12:13]
	v_fmac_f64_e32 v[30:31], s[26:27], v[18:19]
	v_fmac_f64_e32 v[32:33], s[26:27], v[12:13]
	v_fmac_f64_e32 v[34:35], s[26:27], v[18:19]
	v_fmac_f64_e32 v[64:65], s[26:27], v[12:13]
	v_add_f64 v[4:5], v[62:63], v[66:67]
	v_add_f64 v[6:7], v[70:71], -v[60:61]
	v_add_f64 v[8:9], v[64:65], v[22:23]
	v_add_f64 v[10:11], v[24:25], -v[34:35]
	v_add_f64 v[12:13], v[16:17], -v[32:33]
	v_add_f64 v[14:15], v[30:31], v[20:21]
	v_add_f64 v[16:17], v[32:33], v[16:17]
	v_add_f64 v[18:19], v[20:21], -v[30:31]
	v_add_f64 v[20:21], v[22:23], -v[64:65]
	v_add_f64 v[22:23], v[34:35], v[24:25]
	v_add_f64 v[24:25], v[66:67], -v[62:63]
	v_add_f64 v[26:27], v[60:61], v[70:71]
	s_barrier
	ds_write_b128 v96, v[0:3]
	ds_write_b128 v96, v[4:7] offset:160
	ds_write_b128 v96, v[8:11] offset:320
	;; [unrolled: 1-line block ×6, first 2 shown]
	s_waitcnt lgkmcnt(0)
	s_barrier
	ds_read_b128 v[0:3], v95
	ds_read_b128 v[4:7], v95 offset:1120
	ds_read_b128 v[8:11], v95 offset:2240
	;; [unrolled: 1-line block ×6, first 2 shown]
	s_waitcnt lgkmcnt(5)
	v_mul_f64 v[28:29], v[50:51], v[6:7]
	v_fmac_f64_e32 v[28:29], v[48:49], v[4:5]
	v_mul_f64 v[4:5], v[50:51], v[4:5]
	v_fma_f64 v[4:5], v[48:49], v[6:7], -v[4:5]
	s_waitcnt lgkmcnt(4)
	v_mul_f64 v[6:7], v[46:47], v[10:11]
	v_fmac_f64_e32 v[6:7], v[44:45], v[8:9]
	v_mul_f64 v[8:9], v[46:47], v[8:9]
	v_fma_f64 v[8:9], v[44:45], v[10:11], -v[8:9]
	;; [unrolled: 5-line block ×6, first 2 shown]
	v_add_f64 v[26:27], v[28:29], v[22:23]
	v_add_f64 v[30:31], v[4:5], v[24:25]
	v_add_f64 v[4:5], v[4:5], -v[24:25]
	v_add_f64 v[24:25], v[6:7], v[18:19]
	v_add_f64 v[22:23], v[28:29], -v[22:23]
	;; [unrolled: 2-line block ×6, first 2 shown]
	v_add_f64 v[16:17], v[28:29], v[30:31]
	v_add_f64 v[14:15], v[18:19], v[14:15]
	;; [unrolled: 1-line block ×4, first 2 shown]
	v_add_f64 v[32:33], v[24:25], -v[26:27]
	v_add_f64 v[34:35], v[28:29], -v[30:31]
	;; [unrolled: 1-line block ×6, first 2 shown]
	v_add_f64 v[36:37], v[10:11], v[6:7]
	v_add_f64 v[38:39], v[12:13], v[8:9]
	v_add_f64 v[40:41], v[10:11], -v[6:7]
	v_add_f64 v[42:43], v[12:13], -v[8:9]
	;; [unrolled: 1-line block ×4, first 2 shown]
	v_add_f64 v[2:3], v[2:3], v[16:17]
	v_mov_b64_e32 v[44:45], v[0:1]
	v_add_f64 v[10:11], v[22:23], -v[10:11]
	v_add_f64 v[12:13], v[4:5], -v[12:13]
	v_add_f64 v[18:19], v[36:37], v[22:23]
	v_add_f64 v[4:5], v[38:39], v[4:5]
	v_mul_f64 v[20:21], v[26:27], s[10:11]
	v_mul_f64 v[22:23], v[30:31], s[10:11]
	v_mul_f64 v[26:27], v[24:25], s[0:1]
	v_mul_f64 v[30:31], v[28:29], s[0:1]
	v_mul_f64 v[36:37], v[40:41], s[16:17]
	v_mul_f64 v[38:39], v[42:43], s[16:17]
	v_mul_f64 v[40:41], v[6:7], s[14:15]
	v_mul_f64 v[42:43], v[8:9], s[14:15]
	v_fmac_f64_e32 v[44:45], s[18:19], v[14:15]
	v_mov_b64_e32 v[14:15], v[2:3]
	v_fmac_f64_e32 v[14:15], s[18:19], v[16:17]
	v_fma_f64 v[16:17], s[0:1], v[24:25], v[20:21]
	v_fma_f64 v[24:25], v[32:33], s[20:21], -v[26:27]
	v_fma_f64 v[26:27], v[34:35], s[20:21], -v[30:31]
	;; [unrolled: 1-line block ×4, first 2 shown]
	v_fmac_f64_e32 v[22:23], s[0:1], v[28:29]
	v_fma_f64 v[28:29], s[24:25], v[10:11], v[36:37]
	v_fma_f64 v[32:33], v[6:7], s[14:15], -v[36:37]
	v_fma_f64 v[34:35], v[8:9], s[14:15], -v[38:39]
	v_fmac_f64_e32 v[38:39], s[24:25], v[12:13]
	v_fma_f64 v[36:37], v[10:11], s[28:29], -v[40:41]
	v_fma_f64 v[40:41], v[12:13], s[28:29], -v[42:43]
	v_add_f64 v[42:43], v[16:17], v[44:45]
	v_add_f64 v[46:47], v[22:23], v[14:15]
	v_add_f64 v[16:17], v[24:25], v[44:45]
	v_add_f64 v[22:23], v[26:27], v[14:15]
	v_add_f64 v[20:21], v[20:21], v[44:45]
	v_add_f64 v[24:25], v[30:31], v[14:15]
	v_fmac_f64_e32 v[28:29], s[26:27], v[18:19]
	v_fmac_f64_e32 v[38:39], s[26:27], v[4:5]
	;; [unrolled: 1-line block ×6, first 2 shown]
	v_add_f64 v[4:5], v[38:39], v[42:43]
	v_add_f64 v[6:7], v[46:47], -v[28:29]
	v_add_f64 v[8:9], v[40:41], v[20:21]
	v_add_f64 v[10:11], v[24:25], -v[36:37]
	v_add_f64 v[12:13], v[16:17], -v[34:35]
	v_add_f64 v[14:15], v[32:33], v[22:23]
	v_add_f64 v[16:17], v[34:35], v[16:17]
	v_add_f64 v[18:19], v[22:23], -v[32:33]
	v_add_f64 v[20:21], v[20:21], -v[40:41]
	v_add_f64 v[22:23], v[36:37], v[24:25]
	v_add_f64 v[24:25], v[42:43], -v[38:39]
	v_add_f64 v[26:27], v[28:29], v[46:47]
	ds_write_b128 v94, v[0:3]
	ds_write_b128 v94, v[4:7] offset:1120
	ds_write_b128 v94, v[8:11] offset:2240
	;; [unrolled: 1-line block ×6, first 2 shown]
	s_waitcnt lgkmcnt(0)
	s_barrier
	s_and_b64 exec, exec, s[2:3]
	s_cbranch_execz .LBB0_15
; %bb.14:
	global_load_dwordx4 v[0:3], v90, s[8:9]
	global_load_dwordx4 v[4:7], v90, s[8:9] offset:784
	global_load_dwordx4 v[8:11], v90, s[8:9] offset:1568
	;; [unrolled: 1-line block ×5, first 2 shown]
	v_mov_b32_e32 v91, 0
	v_mad_u64_u32 v[68:69], s[2:3], s4, v89, 0
	s_movk_i32 s2, 0x1000
	v_lshl_add_u64 v[24:25], s[8:9], 0, v[90:91]
	v_add_co_u32_e32 v70, vcc, s2, v24
	v_mad_u64_u32 v[66:67], s[0:1], s6, v88, 0
	s_nop 0
	v_addc_co_u32_e32 v71, vcc, 0, v25, vcc
	global_load_dwordx4 v[24:27], v[70:71], off offset:608
	ds_read_b128 v[28:31], v94
	ds_read_b128 v[32:35], v94 offset:784
	ds_read_b128 v[36:39], v94 offset:1568
	;; [unrolled: 1-line block ×5, first 2 shown]
	global_load_dwordx4 v[52:55], v[70:71], off offset:1392
	v_mov_b32_e32 v56, v67
	v_mov_b32_e32 v58, v69
	v_mad_u64_u32 v[56:57], s[6:7], s7, v88, v[56:57]
	v_mad_u64_u32 v[58:59], s[6:7], s5, v89, v[58:59]
	v_mov_b32_e32 v67, v56
	v_mov_b32_e32 v69, v58
	global_load_dwordx4 v[56:59], v[70:71], off offset:2176
	global_load_dwordx4 v[60:63], v[70:71], off offset:2960
	v_mov_b32_e32 v64, s12
	v_mov_b32_e32 v65, s13
	v_lshl_add_u64 v[64:65], v[66:67], 4, v[64:65]
	v_mov_b32_e32 v82, 0x310
	v_lshl_add_u64 v[64:65], v[68:69], 4, v[64:65]
	s_mul_i32 s2, s5, 0x310
	v_mad_u64_u32 v[66:67], s[6:7], s4, v82, v[64:65]
	v_add_u32_e32 v67, s2, v67
	v_mad_u64_u32 v[68:69], s[6:7], s4, v82, v[66:67]
	s_mov_b32 s0, 0xec259dc8
	v_add_u32_e32 v69, s2, v69
	s_mov_b32 s1, 0x3f60b7e6
	v_mad_u64_u32 v[70:71], s[6:7], s4, v82, v[68:69]
	v_add_u32_e32 v71, s2, v71
	s_waitcnt vmcnt(9) lgkmcnt(5)
	v_mul_f64 v[72:73], v[30:31], v[2:3]
	v_mul_f64 v[2:3], v[28:29], v[2:3]
	s_waitcnt vmcnt(7) lgkmcnt(3)
	v_mul_f64 v[76:77], v[38:39], v[10:11]
	v_mul_f64 v[74:75], v[34:35], v[6:7]
	;; [unrolled: 1-line block ×4, first 2 shown]
	s_waitcnt vmcnt(6) lgkmcnt(2)
	v_mul_f64 v[78:79], v[42:43], v[14:15]
	v_mul_f64 v[14:15], v[40:41], v[14:15]
	v_fmac_f64_e32 v[72:73], v[28:29], v[0:1]
	v_fma_f64 v[2:3], v[0:1], v[30:31], -v[2:3]
	v_fmac_f64_e32 v[76:77], v[36:37], v[8:9]
	s_waitcnt vmcnt(5) lgkmcnt(1)
	v_mul_f64 v[80:81], v[46:47], v[18:19]
	v_mul_f64 v[18:19], v[44:45], v[18:19]
	v_fmac_f64_e32 v[74:75], v[32:33], v[4:5]
	v_fma_f64 v[6:7], v[4:5], v[34:35], -v[6:7]
	v_fma_f64 v[10:11], v[8:9], v[38:39], -v[10:11]
	v_fmac_f64_e32 v[78:79], v[40:41], v[12:13]
	v_fma_f64 v[14:15], v[12:13], v[42:43], -v[14:15]
	v_mul_f64 v[0:1], v[72:73], s[0:1]
	v_mul_f64 v[2:3], v[2:3], s[0:1]
	;; [unrolled: 1-line block ×8, first 2 shown]
	global_store_dwordx4 v[64:65], v[0:3], off
	global_store_dwordx4 v[66:67], v[4:7], off
	;; [unrolled: 1-line block ×4, first 2 shown]
	v_fma_f64 v[0:1], v[16:17], v[46:47], -v[18:19]
	v_mad_u64_u32 v[8:9], s[6:7], s4, v82, v[70:71]
	v_mul_f64 v[30:31], v[0:1], s[0:1]
	v_add_u32_e32 v9, s2, v9
	s_waitcnt vmcnt(8) lgkmcnt(0)
	v_mul_f64 v[0:1], v[50:51], v[22:23]
	v_mul_f64 v[2:3], v[48:49], v[22:23]
	ds_read_b128 v[4:7], v94 offset:4704
	v_fmac_f64_e32 v[80:81], v[44:45], v[16:17]
	v_fmac_f64_e32 v[0:1], v[48:49], v[20:21]
	v_fma_f64 v[2:3], v[20:21], v[50:51], -v[2:3]
	v_mad_u64_u32 v[12:13], s[6:7], s4, v82, v[8:9]
	v_mul_f64 v[28:29], v[80:81], s[0:1]
	v_mul_f64 v[0:1], v[0:1], s[0:1]
	;; [unrolled: 1-line block ×3, first 2 shown]
	v_add_u32_e32 v13, s2, v13
	global_store_dwordx4 v[8:9], v[28:31], off
	global_store_dwordx4 v[12:13], v[0:3], off
	ds_read_b128 v[0:3], v94 offset:5488
	s_waitcnt vmcnt(9) lgkmcnt(1)
	v_mul_f64 v[8:9], v[6:7], v[26:27]
	v_fmac_f64_e32 v[8:9], v[4:5], v[24:25]
	v_mul_f64 v[4:5], v[4:5], v[26:27]
	v_fma_f64 v[4:5], v[24:25], v[6:7], -v[4:5]
	v_mul_f64 v[10:11], v[4:5], s[0:1]
	s_waitcnt vmcnt(8) lgkmcnt(0)
	v_mul_f64 v[4:5], v[2:3], v[54:55]
	v_fmac_f64_e32 v[4:5], v[0:1], v[52:53]
	v_mul_f64 v[0:1], v[0:1], v[54:55]
	v_mad_u64_u32 v[12:13], s[6:7], s4, v82, v[12:13]
	v_fma_f64 v[0:1], v[52:53], v[2:3], -v[0:1]
	v_mul_f64 v[8:9], v[8:9], s[0:1]
	v_add_u32_e32 v13, s2, v13
	v_mul_f64 v[6:7], v[0:1], s[0:1]
	ds_read_b128 v[0:3], v94 offset:6272
	global_store_dwordx4 v[12:13], v[8:11], off
	v_mad_u64_u32 v[12:13], s[6:7], s4, v82, v[12:13]
	v_mul_f64 v[4:5], v[4:5], s[0:1]
	v_add_u32_e32 v13, s2, v13
	global_store_dwordx4 v[12:13], v[4:7], off
	ds_read_b128 v[4:7], v94 offset:7056
	s_waitcnt vmcnt(9) lgkmcnt(1)
	v_mul_f64 v[8:9], v[2:3], v[58:59]
	v_fmac_f64_e32 v[8:9], v[0:1], v[56:57]
	v_mul_f64 v[0:1], v[0:1], v[58:59]
	v_fma_f64 v[0:1], v[56:57], v[2:3], -v[0:1]
	v_mul_f64 v[10:11], v[0:1], s[0:1]
	v_mad_u64_u32 v[12:13], s[6:7], s4, v82, v[12:13]
	s_waitcnt vmcnt(8) lgkmcnt(0)
	v_mul_f64 v[0:1], v[6:7], v[62:63]
	v_mul_f64 v[2:3], v[4:5], v[62:63]
	v_add_u32_e32 v13, s2, v13
	v_fmac_f64_e32 v[0:1], v[4:5], v[60:61]
	v_fma_f64 v[2:3], v[60:61], v[6:7], -v[2:3]
	v_mul_f64 v[8:9], v[8:9], s[0:1]
	v_mul_f64 v[0:1], v[0:1], s[0:1]
	v_mul_f64 v[2:3], v[2:3], s[0:1]
	v_mad_u64_u32 v[4:5], s[0:1], s4, v82, v[12:13]
	v_add_u32_e32 v5, s2, v5
	global_store_dwordx4 v[12:13], v[8:11], off
	global_store_dwordx4 v[4:5], v[0:3], off
.LBB0_15:
	s_endpgm
	.section	.rodata,"a",@progbits
	.p2align	6, 0x0
	.amdhsa_kernel bluestein_single_fwd_len490_dim1_dp_op_CI_CI
		.amdhsa_group_segment_fixed_size 23520
		.amdhsa_private_segment_fixed_size 0
		.amdhsa_kernarg_size 104
		.amdhsa_user_sgpr_count 2
		.amdhsa_user_sgpr_dispatch_ptr 0
		.amdhsa_user_sgpr_queue_ptr 0
		.amdhsa_user_sgpr_kernarg_segment_ptr 1
		.amdhsa_user_sgpr_dispatch_id 0
		.amdhsa_user_sgpr_kernarg_preload_length 0
		.amdhsa_user_sgpr_kernarg_preload_offset 0
		.amdhsa_user_sgpr_private_segment_size 0
		.amdhsa_uses_dynamic_stack 0
		.amdhsa_enable_private_segment 0
		.amdhsa_system_sgpr_workgroup_id_x 1
		.amdhsa_system_sgpr_workgroup_id_y 0
		.amdhsa_system_sgpr_workgroup_id_z 0
		.amdhsa_system_sgpr_workgroup_info 0
		.amdhsa_system_vgpr_workitem_id 0
		.amdhsa_next_free_vgpr 154
		.amdhsa_next_free_sgpr 34
		.amdhsa_accum_offset 156
		.amdhsa_reserve_vcc 1
		.amdhsa_float_round_mode_32 0
		.amdhsa_float_round_mode_16_64 0
		.amdhsa_float_denorm_mode_32 3
		.amdhsa_float_denorm_mode_16_64 3
		.amdhsa_dx10_clamp 1
		.amdhsa_ieee_mode 1
		.amdhsa_fp16_overflow 0
		.amdhsa_tg_split 0
		.amdhsa_exception_fp_ieee_invalid_op 0
		.amdhsa_exception_fp_denorm_src 0
		.amdhsa_exception_fp_ieee_div_zero 0
		.amdhsa_exception_fp_ieee_overflow 0
		.amdhsa_exception_fp_ieee_underflow 0
		.amdhsa_exception_fp_ieee_inexact 0
		.amdhsa_exception_int_div_zero 0
	.end_amdhsa_kernel
	.text
.Lfunc_end0:
	.size	bluestein_single_fwd_len490_dim1_dp_op_CI_CI, .Lfunc_end0-bluestein_single_fwd_len490_dim1_dp_op_CI_CI
                                        ; -- End function
	.section	.AMDGPU.csdata,"",@progbits
; Kernel info:
; codeLenInByte = 9552
; NumSgprs: 40
; NumVgprs: 154
; NumAgprs: 0
; TotalNumVgprs: 154
; ScratchSize: 0
; MemoryBound: 0
; FloatMode: 240
; IeeeMode: 1
; LDSByteSize: 23520 bytes/workgroup (compile time only)
; SGPRBlocks: 4
; VGPRBlocks: 19
; NumSGPRsForWavesPerEU: 40
; NumVGPRsForWavesPerEU: 154
; AccumOffset: 156
; Occupancy: 3
; WaveLimiterHint : 1
; COMPUTE_PGM_RSRC2:SCRATCH_EN: 0
; COMPUTE_PGM_RSRC2:USER_SGPR: 2
; COMPUTE_PGM_RSRC2:TRAP_HANDLER: 0
; COMPUTE_PGM_RSRC2:TGID_X_EN: 1
; COMPUTE_PGM_RSRC2:TGID_Y_EN: 0
; COMPUTE_PGM_RSRC2:TGID_Z_EN: 0
; COMPUTE_PGM_RSRC2:TIDIG_COMP_CNT: 0
; COMPUTE_PGM_RSRC3_GFX90A:ACCUM_OFFSET: 38
; COMPUTE_PGM_RSRC3_GFX90A:TG_SPLIT: 0
	.text
	.p2alignl 6, 3212836864
	.fill 256, 4, 3212836864
	.type	__hip_cuid_749a5c27d2ed8522,@object ; @__hip_cuid_749a5c27d2ed8522
	.section	.bss,"aw",@nobits
	.globl	__hip_cuid_749a5c27d2ed8522
__hip_cuid_749a5c27d2ed8522:
	.byte	0                               ; 0x0
	.size	__hip_cuid_749a5c27d2ed8522, 1

	.ident	"AMD clang version 19.0.0git (https://github.com/RadeonOpenCompute/llvm-project roc-6.4.0 25133 c7fe45cf4b819c5991fe208aaa96edf142730f1d)"
	.section	".note.GNU-stack","",@progbits
	.addrsig
	.addrsig_sym __hip_cuid_749a5c27d2ed8522
	.amdgpu_metadata
---
amdhsa.kernels:
  - .agpr_count:     0
    .args:
      - .actual_access:  read_only
        .address_space:  global
        .offset:         0
        .size:           8
        .value_kind:     global_buffer
      - .actual_access:  read_only
        .address_space:  global
        .offset:         8
        .size:           8
        .value_kind:     global_buffer
      - .actual_access:  read_only
        .address_space:  global
        .offset:         16
        .size:           8
        .value_kind:     global_buffer
      - .actual_access:  read_only
        .address_space:  global
        .offset:         24
        .size:           8
        .value_kind:     global_buffer
      - .actual_access:  read_only
        .address_space:  global
        .offset:         32
        .size:           8
        .value_kind:     global_buffer
      - .offset:         40
        .size:           8
        .value_kind:     by_value
      - .address_space:  global
        .offset:         48
        .size:           8
        .value_kind:     global_buffer
      - .address_space:  global
        .offset:         56
        .size:           8
        .value_kind:     global_buffer
      - .address_space:  global
        .offset:         64
        .size:           8
        .value_kind:     global_buffer
      - .address_space:  global
        .offset:         72
        .size:           8
        .value_kind:     global_buffer
      - .offset:         80
        .size:           4
        .value_kind:     by_value
      - .address_space:  global
        .offset:         88
        .size:           8
        .value_kind:     global_buffer
      - .address_space:  global
        .offset:         96
        .size:           8
        .value_kind:     global_buffer
    .group_segment_fixed_size: 23520
    .kernarg_segment_align: 8
    .kernarg_segment_size: 104
    .language:       OpenCL C
    .language_version:
      - 2
      - 0
    .max_flat_workgroup_size: 210
    .name:           bluestein_single_fwd_len490_dim1_dp_op_CI_CI
    .private_segment_fixed_size: 0
    .sgpr_count:     40
    .sgpr_spill_count: 0
    .symbol:         bluestein_single_fwd_len490_dim1_dp_op_CI_CI.kd
    .uniform_work_group_size: 1
    .uses_dynamic_stack: false
    .vgpr_count:     154
    .vgpr_spill_count: 0
    .wavefront_size: 64
amdhsa.target:   amdgcn-amd-amdhsa--gfx950
amdhsa.version:
  - 1
  - 2
...

	.end_amdgpu_metadata
